;; amdgpu-corpus repo=ROCm/rocFFT kind=compiled arch=gfx1030 opt=O3
	.text
	.amdgcn_target "amdgcn-amd-amdhsa--gfx1030"
	.amdhsa_code_object_version 6
	.protected	bluestein_single_fwd_len1125_dim1_half_op_CI_CI ; -- Begin function bluestein_single_fwd_len1125_dim1_half_op_CI_CI
	.globl	bluestein_single_fwd_len1125_dim1_half_op_CI_CI
	.p2align	8
	.type	bluestein_single_fwd_len1125_dim1_half_op_CI_CI,@function
bluestein_single_fwd_len1125_dim1_half_op_CI_CI: ; @bluestein_single_fwd_len1125_dim1_half_op_CI_CI
; %bb.0:
	s_load_dwordx4 s[12:15], s[4:5], 0x28
	v_mul_u32_u24_e32 v1, 0x124, v0
	v_mov_b32_e32 v9, 0
	s_mov_b32 s0, exec_lo
	v_lshrrev_b32_e32 v1, 16, v1
	v_add_nc_u32_e32 v8, s6, v1
	s_waitcnt lgkmcnt(0)
	v_cmpx_gt_u64_e64 s[12:13], v[8:9]
	s_cbranch_execz .LBB0_18
; %bb.1:
	s_clause 0x1
	s_load_dwordx4 s[8:11], s[4:5], 0x18
	s_load_dwordx4 s[0:3], s[4:5], 0x0
	v_mul_lo_u16 v1, 0xe1, v1
	s_load_dwordx2 s[4:5], s[4:5], 0x38
	v_sub_nc_u16 v11, v0, v1
	v_and_b32_e32 v23, 0xffff, v11
	v_lshlrev_b32_e32 v19, 2, v23
	s_waitcnt lgkmcnt(0)
	s_load_dwordx4 s[16:19], s[8:9], 0x0
	s_clause 0x2
	global_load_dword v25, v19, s[0:1]
	global_load_dword v24, v19, s[0:1] offset:900
	global_load_dword v22, v19, s[0:1] offset:1800
	v_add_co_u32 v17, s6, s0, v19
	v_add_co_ci_u32_e64 v18, null, s1, 0, s6
	v_add_nc_u32_e32 v12, 0x700, v19
	s_waitcnt lgkmcnt(0)
	v_mad_u64_u32 v[0:1], null, s18, v8, 0
	v_mad_u64_u32 v[2:3], null, s16, v23, 0
	s_mul_i32 s6, s17, 0x384
	s_mul_hi_u32 s7, s16, 0x384
	s_mul_i32 s8, s16, 0x384
	s_add_i32 s7, s7, s6
	v_mad_u64_u32 v[4:5], null, s19, v8, v[1:2]
	v_mad_u64_u32 v[5:6], null, s17, v23, v[3:4]
	v_mov_b32_e32 v1, v4
	v_lshlrev_b64 v[0:1], 2, v[0:1]
	v_mov_b32_e32 v3, v5
	v_add_co_u32 v0, vcc_lo, s14, v0
	v_lshlrev_b64 v[2:3], 2, v[2:3]
	v_add_co_ci_u32_e32 v1, vcc_lo, s15, v1, vcc_lo
	v_add_co_u32 v0, vcc_lo, v0, v2
	v_add_co_ci_u32_e32 v1, vcc_lo, v1, v3, vcc_lo
	v_add_co_u32 v2, vcc_lo, v0, s8
	v_add_co_ci_u32_e32 v3, vcc_lo, s7, v1, vcc_lo
	s_clause 0x1
	global_load_dword v6, v[0:1], off
	global_load_dword v7, v[2:3], off
	v_add_co_u32 v4, vcc_lo, v2, s8
	v_add_co_ci_u32_e32 v5, vcc_lo, s7, v3, vcc_lo
	v_add_co_u32 v0, vcc_lo, v4, s8
	v_add_co_ci_u32_e32 v1, vcc_lo, s7, v5, vcc_lo
	global_load_dword v9, v[4:5], off
	v_add_co_u32 v2, vcc_lo, v0, s8
	v_add_co_ci_u32_e32 v3, vcc_lo, s7, v1, vcc_lo
	v_add_co_u32 v4, vcc_lo, 0x800, v17
	v_add_co_ci_u32_e32 v5, vcc_lo, 0, v18, vcc_lo
	s_clause 0x1
	global_load_dword v0, v[0:1], off
	global_load_dword v1, v[2:3], off
	s_clause 0x1
	global_load_dword v21, v[4:5], off offset:652
	global_load_dword v20, v[4:5], off offset:1552
	v_and_b32_e32 v2, 0xff, v11
	s_load_dwordx4 s[8:11], s[10:11], 0x0
	v_cmp_gt_u16_e32 vcc_lo, 0x96, v11
	v_mul_lo_u16 v2, 0xcd, v2
	s_waitcnt vmcnt(6)
	v_lshrrev_b32_e32 v3, 16, v6
	v_mul_f16_sdwa v4, v25, v6 dst_sel:DWORD dst_unused:UNUSED_PAD src0_sel:WORD_1 src1_sel:DWORD
	s_waitcnt vmcnt(5)
	v_lshrrev_b32_e32 v5, 16, v7
	v_mul_f16_sdwa v13, v24, v7 dst_sel:DWORD dst_unused:UNUSED_PAD src0_sel:WORD_1 src1_sel:DWORD
	v_mul_f16_sdwa v10, v25, v3 dst_sel:DWORD dst_unused:UNUSED_PAD src0_sel:WORD_1 src1_sel:DWORD
	v_fma_f16 v3, v25, v3, -v4
	v_mul_f16_sdwa v4, v24, v5 dst_sel:DWORD dst_unused:UNUSED_PAD src0_sel:WORD_1 src1_sel:DWORD
	v_fma_f16 v5, v24, v5, -v13
	v_fmac_f16_e32 v10, v25, v6
	s_waitcnt vmcnt(4)
	v_lshrrev_b32_e32 v6, 16, v9
	v_mul_f16_sdwa v13, v22, v9 dst_sel:DWORD dst_unused:UNUSED_PAD src0_sel:WORD_1 src1_sel:DWORD
	v_fmac_f16_e32 v4, v24, v7
	v_mul_f16_sdwa v14, v22, v6 dst_sel:DWORD dst_unused:UNUSED_PAD src0_sel:WORD_1 src1_sel:DWORD
	v_fma_f16 v6, v22, v6, -v13
	s_waitcnt vmcnt(3)
	v_lshrrev_b32_e32 v7, 16, v0
	s_waitcnt vmcnt(2)
	v_lshrrev_b32_e32 v15, 16, v1
	s_waitcnt vmcnt(1)
	v_mul_f16_sdwa v13, v21, v0 dst_sel:DWORD dst_unused:UNUSED_PAD src0_sel:WORD_1 src1_sel:DWORD
	s_waitcnt vmcnt(0)
	v_mul_f16_sdwa v26, v20, v1 dst_sel:DWORD dst_unused:UNUSED_PAD src0_sel:WORD_1 src1_sel:DWORD
	v_fmac_f16_e32 v14, v22, v9
	v_mul_f16_sdwa v16, v21, v7 dst_sel:DWORD dst_unused:UNUSED_PAD src0_sel:WORD_1 src1_sel:DWORD
	v_mul_f16_sdwa v27, v20, v15 dst_sel:DWORD dst_unused:UNUSED_PAD src0_sel:WORD_1 src1_sel:DWORD
	v_fma_f16 v7, v21, v7, -v13
	v_mul_lo_u16 v9, v11, 5
	v_fmac_f16_e32 v16, v21, v0
	v_fma_f16 v0, v20, v15, -v26
	v_fmac_f16_e32 v27, v20, v1
	v_pack_b32_f16 v1, v10, v3
	v_pack_b32_f16 v3, v4, v5
	;; [unrolled: 1-line block ×5, first 2 shown]
	v_lshrrev_b16 v6, 10, v2
	ds_write2_b32 v19, v1, v3 offset1:225
	ds_write2_b32 v12, v4, v5 offset0:2 offset1:227
	ds_write_b32 v19, v0 offset:3600
	s_waitcnt lgkmcnt(0)
	s_barrier
	buffer_gl0_inv
	ds_read2_b32 v[0:1], v19 offset1:225
	ds_read2_b32 v[2:3], v12 offset0:2 offset1:227
	ds_read_b32 v4, v19 offset:3600
	v_mov_b32_e32 v7, 2
	v_mul_lo_u16 v5, v6, 5
	s_waitcnt lgkmcnt(0)
	s_barrier
	buffer_gl0_inv
	v_lshlrev_b32_sdwa v29, v7, v9 dst_sel:DWORD dst_unused:UNUSED_PAD src0_sel:DWORD src1_sel:WORD_0
	v_sub_nc_u16 v5, v11, v5
	v_and_b32_e32 v13, 0xff, v5
	v_lshlrev_b32_e32 v5, 4, v13
	v_pk_add_f16 v7, v0, v1
	v_pk_add_f16 v9, v2, v3
	v_pk_add_f16 v10, v1, v4 neg_lo:[0,1] neg_hi:[0,1]
	v_pk_add_f16 v14, v2, v3 neg_lo:[0,1] neg_hi:[0,1]
	v_pk_add_f16 v26, v1, v4
	v_pk_add_f16 v15, v1, v2 neg_lo:[0,1] neg_hi:[0,1]
	v_pk_fma_f16 v9, v9, 0.5, v0 op_sel_hi:[1,0,1] neg_lo:[1,0,0] neg_hi:[1,0,0]
	v_pk_mul_f16 v28, 0x3b9c, v10 op_sel_hi:[0,1]
	v_pk_mul_f16 v10, 0x38b4, v10 op_sel_hi:[0,1]
	v_pk_fma_f16 v0, v26, 0.5, v0 op_sel_hi:[1,0,1] neg_lo:[1,0,0] neg_hi:[1,0,0]
	v_pk_mul_f16 v26, 0x3b9c, v14 op_sel_hi:[0,1]
	v_pk_mul_f16 v14, 0x38b4, v14 op_sel_hi:[0,1]
	v_pk_add_f16 v30, v9, v28 op_sel:[0,1] op_sel_hi:[1,0]
	v_pk_add_f16 v9, v9, v28 op_sel:[0,1] op_sel_hi:[1,0] neg_lo:[0,1] neg_hi:[0,1]
	v_pk_add_f16 v16, v4, v3 neg_lo:[0,1] neg_hi:[0,1]
	v_pk_add_f16 v28, v0, v26 op_sel:[0,1] op_sel_hi:[1,0] neg_lo:[0,1] neg_hi:[0,1]
	v_pk_add_f16 v0, v0, v26 op_sel:[0,1] op_sel_hi:[1,0]
	v_pk_add_f16 v1, v2, v1 neg_lo:[0,1] neg_hi:[0,1]
	v_pk_add_f16 v2, v7, v2
	v_pk_add_f16 v7, v30, v14 op_sel:[0,1] op_sel_hi:[1,0]
	v_pk_add_f16 v9, v9, v14 op_sel:[0,1] op_sel_hi:[1,0] neg_lo:[0,1] neg_hi:[0,1]
	v_pk_add_f16 v27, v3, v4 neg_lo:[0,1] neg_hi:[0,1]
	v_pk_add_f16 v14, v28, v10 op_sel:[0,1] op_sel_hi:[1,0]
	v_pk_add_f16 v0, v0, v10 op_sel:[0,1] op_sel_hi:[1,0] neg_lo:[0,1] neg_hi:[0,1]
	v_pk_add_f16 v10, v15, v16
	v_pk_add_f16 v2, v2, v3
	v_bfi_b32 v3, 0xffff, v7, v9
	v_pk_add_f16 v1, v1, v27
	v_bfi_b32 v15, 0xffff, v14, v0
	v_bfi_b32 v0, 0xffff, v0, v14
	;; [unrolled: 1-line block ×3, first 2 shown]
	v_pk_add_f16 v2, v2, v4
	v_pk_fma_f16 v3, 0x34f2, v10, v3 op_sel_hi:[0,1,1]
	v_pk_fma_f16 v4, 0x34f2, v1, v15 op_sel_hi:[0,1,1]
	;; [unrolled: 1-line block ×4, first 2 shown]
	ds_write2_b32 v29, v2, v3 offset1:1
	ds_write2_b32 v29, v4, v0 offset0:2 offset1:3
	ds_write_b32 v29, v1 offset:16
	s_waitcnt lgkmcnt(0)
	s_barrier
	buffer_gl0_inv
	global_load_dwordx4 v[0:3], v5, s[2:3]
	ds_read2_b32 v[4:5], v19 offset1:225
	ds_read2_b32 v[9:10], v12 offset0:2 offset1:227
	ds_read_b32 v7, v19 offset:3600
	v_mov_b32_e32 v12, 25
	s_waitcnt vmcnt(0) lgkmcnt(0)
	s_barrier
	buffer_gl0_inv
	v_mul_u32_u24_sdwa v6, v6, v12 dst_sel:DWORD dst_unused:UNUSED_PAD src0_sel:WORD_0 src1_sel:DWORD
	v_add_lshl_u32 v26, v6, v13, 2
	v_lshrrev_b32_e32 v12, 16, v5
	v_lshrrev_b32_e32 v13, 16, v9
	;; [unrolled: 1-line block ×5, first 2 shown]
	v_mul_f16_sdwa v16, v12, v0 dst_sel:DWORD dst_unused:UNUSED_PAD src0_sel:DWORD src1_sel:WORD_1
	v_mul_f16_sdwa v27, v5, v0 dst_sel:DWORD dst_unused:UNUSED_PAD src0_sel:DWORD src1_sel:WORD_1
	;; [unrolled: 1-line block ×8, first 2 shown]
	v_fma_f16 v5, v5, v0, -v16
	v_fmac_f16_e32 v27, v12, v0
	v_fma_f16 v9, v9, v1, -v28
	v_fmac_f16_e32 v30, v13, v1
	;; [unrolled: 2-line block ×4, first 2 shown]
	v_add_f16_e32 v7, v4, v5
	v_add_f16_e32 v13, v9, v10
	v_sub_f16_e32 v14, v5, v9
	v_sub_f16_e32 v28, v12, v10
	v_add_f16_e32 v36, v6, v27
	v_add_f16_e32 v37, v30, v32
	;; [unrolled: 1-line block ×4, first 2 shown]
	v_sub_f16_e32 v15, v27, v34
	v_sub_f16_e32 v16, v30, v32
	;; [unrolled: 1-line block ×7, first 2 shown]
	v_add_f16_e32 v9, v7, v9
	v_fma_f16 v7, -0.5, v13, v4
	v_add_f16_e32 v13, v14, v28
	v_add_f16_e32 v30, v36, v30
	v_fma_f16 v14, -0.5, v37, v6
	v_sub_f16_e32 v35, v10, v12
	v_fmac_f16_e32 v4, -0.5, v31
	v_fmac_f16_e32 v6, -0.5, v41
	v_sub_f16_e32 v40, v34, v32
	v_sub_f16_e32 v42, v32, v34
	v_add_f16_e32 v9, v9, v10
	v_fmamk_f16 v10, v15, 0x3b9c, v7
	v_add_f16_e32 v30, v30, v32
	v_fmamk_f16 v32, v5, 0xbb9c, v14
	;; [unrolled: 2-line block ×3, first 2 shown]
	v_fmac_f16_e32 v4, 0x3b9c, v16
	v_fmamk_f16 v35, v38, 0x3b9c, v6
	v_fmac_f16_e32 v6, 0xbb9c, v38
	v_fmac_f16_e32 v7, 0xbb9c, v15
	;; [unrolled: 1-line block ×3, first 2 shown]
	v_add_f16_e32 v31, v39, v40
	v_fmac_f16_e32 v10, 0x38b4, v16
	v_fmac_f16_e32 v32, 0xb8b4, v38
	v_add_f16_e32 v27, v27, v42
	v_fmac_f16_e32 v33, 0x38b4, v15
	v_fmac_f16_e32 v4, 0xb8b4, v15
	;; [unrolled: 1-line block ×6, first 2 shown]
	v_add_f16_e32 v9, v9, v12
	v_add_f16_e32 v12, v30, v34
	v_fmac_f16_e32 v10, 0x34f2, v13
	v_fmac_f16_e32 v32, 0x34f2, v31
	;; [unrolled: 1-line block ×8, first 2 shown]
	v_pack_b32_f16 v5, v9, v12
	v_pack_b32_f16 v9, v10, v32
	;; [unrolled: 1-line block ×5, first 2 shown]
	ds_write2_b32 v26, v5, v9 offset1:5
	ds_write2_b32 v26, v10, v12 offset0:10 offset1:15
	ds_write_b32 v26, v13 offset:80
	s_waitcnt lgkmcnt(0)
	s_barrier
	buffer_gl0_inv
	ds_read_b32 v15, v19
	ds_read_b32 v30, v19 offset:1500
	ds_read_b32 v32, v19 offset:3000
                                        ; implicit-def: $vgpr16
                                        ; implicit-def: $vgpr31
	s_and_saveexec_b32 s0, vcc_lo
	s_cbranch_execz .LBB0_3
; %bb.2:
	ds_read_b32 v4, v19 offset:900
	ds_read_b32 v7, v19 offset:2400
	;; [unrolled: 1-line block ×3, first 2 shown]
	s_waitcnt lgkmcnt(2)
	v_lshrrev_b32_e32 v6, 16, v4
	s_waitcnt lgkmcnt(1)
	v_lshrrev_b32_e32 v14, 16, v7
	;; [unrolled: 2-line block ×3, first 2 shown]
.LBB0_3:
	s_or_b32 exec_lo, exec_lo, s0
	v_add_nc_u16 v5, v23, 0xe1
	v_mov_b32_e32 v9, 0x47af
	v_and_b32_e32 v13, 0xff, v23
	s_waitcnt lgkmcnt(1)
	v_lshrrev_b32_e32 v35, 16, v30
	s_waitcnt lgkmcnt(0)
	v_lshrrev_b32_e32 v36, 16, v32
	v_mov_b32_e32 v37, 0x4b
	v_mul_u32_u24_sdwa v9, v5, v9 dst_sel:DWORD dst_unused:UNUSED_PAD src0_sel:WORD_0 src1_sel:DWORD
	v_mul_lo_u16 v10, v13, 41
	v_lshrrev_b32_e32 v9, 16, v9
	v_lshrrev_b16 v33, 10, v10
	v_sub_nc_u16 v10, v5, v9
	v_mul_lo_u16 v11, v33, 25
	v_mul_u32_u24_sdwa v33, v33, v37 dst_sel:DWORD dst_unused:UNUSED_PAD src0_sel:WORD_0 src1_sel:DWORD
	v_lshrrev_b16 v10, 1, v10
	v_sub_nc_u16 v11, v23, v11
	v_add_nc_u16 v9, v10, v9
	v_and_b32_e32 v34, 0xff, v11
	v_lshrrev_b16 v27, 4, v9
	v_lshlrev_b32_e32 v9, 3, v34
	v_mul_lo_u16 v10, v27, 25
	global_load_dwordx2 v[11:12], v9, s[2:3] offset:80
	v_sub_nc_u16 v28, v5, v10
	v_lshlrev_b16 v9, 3, v28
	v_and_b32_e32 v9, 0xffff, v9
	v_add_co_u32 v9, s0, s2, v9
	v_add_co_ci_u32_e64 v10, null, s3, 0, s0
	global_load_dwordx2 v[9:10], v[9:10], off offset:80
	s_waitcnt vmcnt(0)
	s_barrier
	buffer_gl0_inv
	v_mul_f16_sdwa v38, v35, v11 dst_sel:DWORD dst_unused:UNUSED_PAD src0_sel:DWORD src1_sel:WORD_1
	v_mul_f16_sdwa v39, v36, v12 dst_sel:DWORD dst_unused:UNUSED_PAD src0_sel:DWORD src1_sel:WORD_1
	;; [unrolled: 1-line block ×4, first 2 shown]
	v_fma_f16 v37, v30, v11, -v38
	v_fma_f16 v32, v32, v12, -v39
	v_fmac_f16_e32 v40, v35, v11
	v_fmac_f16_e32 v41, v36, v12
	v_lshrrev_b32_e32 v35, 16, v15
	v_add_lshl_u32 v30, v33, v34, 2
	v_add_f16_e32 v33, v37, v32
	v_add_f16_e32 v34, v15, v37
	v_add_f16_e32 v36, v40, v41
	v_sub_f16_e32 v38, v40, v41
	v_add_f16_e32 v39, v35, v40
	v_fmac_f16_e32 v15, -0.5, v33
	v_sub_f16_e32 v33, v37, v32
	v_fmac_f16_e32 v35, -0.5, v36
	v_add_f16_e32 v32, v34, v32
	v_add_f16_e32 v34, v39, v41
	v_fmamk_f16 v36, v38, 0x3aee, v15
	v_fmac_f16_e32 v15, 0xbaee, v38
	v_fmamk_f16 v37, v33, 0xbaee, v35
	v_fmac_f16_e32 v35, 0x3aee, v33
	v_pack_b32_f16 v32, v32, v34
	v_mul_f16_sdwa v33, v14, v9 dst_sel:DWORD dst_unused:UNUSED_PAD src0_sel:DWORD src1_sel:WORD_1
	v_mul_f16_sdwa v38, v31, v10 dst_sel:DWORD dst_unused:UNUSED_PAD src0_sel:DWORD src1_sel:WORD_1
	;; [unrolled: 1-line block ×4, first 2 shown]
	v_pack_b32_f16 v15, v15, v35
	v_fma_f16 v7, v7, v9, -v33
	v_fma_f16 v16, v16, v10, -v38
	v_fmac_f16_e32 v39, v14, v9
	v_fmac_f16_e32 v40, v31, v10
	v_pack_b32_f16 v14, v36, v37
	v_add_f16_e32 v33, v4, v7
	v_add_f16_e32 v31, v7, v16
	;; [unrolled: 1-line block ×4, first 2 shown]
	v_sub_f16_e32 v36, v39, v40
	v_sub_f16_e32 v37, v7, v16
	v_fmac_f16_e32 v4, -0.5, v31
	v_add_f16_e32 v7, v33, v16
	v_fmac_f16_e32 v6, -0.5, v34
	v_add_f16_e32 v35, v35, v40
	ds_write2_b32 v30, v32, v14 offset1:25
	ds_write_b32 v30, v15 offset:200
	v_fmamk_f16 v31, v36, 0x3aee, v4
	v_fmac_f16_e32 v4, 0xbaee, v36
	v_fmamk_f16 v33, v37, 0xbaee, v6
	v_fmac_f16_e32 v6, 0x3aee, v37
	s_and_saveexec_b32 s0, vcc_lo
	s_cbranch_execz .LBB0_5
; %bb.4:
	v_mad_u16 v14, 0x4b, v27, v28
	v_mov_b32_e32 v15, 2
	v_perm_b32 v16, v35, v7, 0x5040100
	v_perm_b32 v32, v33, v31, 0x5040100
	v_lshlrev_b32_sdwa v14, v15, v14 dst_sel:DWORD dst_unused:UNUSED_PAD src0_sel:DWORD src1_sel:WORD_0
	v_perm_b32 v15, v6, v4, 0x5040100
	ds_write2_b32 v14, v16, v32 offset1:25
	ds_write_b32 v14, v15 offset:200
.LBB0_5:
	s_or_b32 exec_lo, exec_lo, s0
	s_waitcnt lgkmcnt(0)
	s_barrier
	buffer_gl0_inv
	ds_read_b32 v34, v19
	ds_read_b32 v36, v19 offset:1500
	ds_read_b32 v32, v19 offset:3000
	s_and_saveexec_b32 s0, vcc_lo
	s_cbranch_execz .LBB0_7
; %bb.6:
	ds_read_b32 v7, v19 offset:900
	ds_read_b32 v31, v19 offset:2400
	;; [unrolled: 1-line block ×3, first 2 shown]
	s_waitcnt lgkmcnt(2)
	v_lshrrev_b32_e32 v35, 16, v7
	s_waitcnt lgkmcnt(1)
	v_lshrrev_b32_e32 v33, 16, v31
	;; [unrolled: 2-line block ×3, first 2 shown]
.LBB0_7:
	s_or_b32 exec_lo, exec_lo, s0
	v_mov_b32_e32 v14, 0xb4e9
	v_mul_lo_u16 v13, 0xdb, v13
	s_waitcnt lgkmcnt(0)
	v_lshrrev_b32_e32 v39, 16, v32
	v_mov_b32_e32 v40, 0xe1
	v_lshrrev_b32_e32 v43, 16, v34
	v_mul_u32_u24_sdwa v14, v5, v14 dst_sel:DWORD dst_unused:UNUSED_PAD src0_sel:WORD_0 src1_sel:DWORD
	v_lshrrev_b16 v37, 14, v13
	v_lshrrev_b32_e32 v14, 16, v14
	v_sub_nc_u16 v15, v5, v14
	v_lshrrev_b16 v13, 1, v15
	v_mul_lo_u16 v15, 0x4b, v37
	v_mul_u32_u24_sdwa v37, v37, v40 dst_sel:DWORD dst_unused:UNUSED_PAD src0_sel:WORD_0 src1_sel:DWORD
	v_add_nc_u16 v13, v13, v14
	v_sub_nc_u16 v14, v23, v15
	v_lshrrev_b16 v41, 6, v13
	v_and_b32_e32 v38, 0xff, v14
	v_mul_lo_u16 v13, 0x4b, v41
	v_lshlrev_b32_e32 v14, 3, v38
	v_sub_nc_u16 v42, v5, v13
	global_load_dwordx2 v[15:16], v14, s[2:3] offset:280
	v_lshlrev_b16 v5, 3, v42
	v_and_b32_e32 v5, 0xffff, v5
	v_add_co_u32 v13, s0, s2, v5
	v_add_co_ci_u32_e64 v14, null, s3, 0, s0
	v_lshrrev_b32_e32 v5, 16, v36
	global_load_dwordx2 v[13:14], v[13:14], off offset:280
	s_waitcnt vmcnt(0)
	s_barrier
	buffer_gl0_inv
	v_mul_f16_sdwa v44, v5, v15 dst_sel:DWORD dst_unused:UNUSED_PAD src0_sel:DWORD src1_sel:WORD_1
	v_mul_f16_sdwa v45, v36, v15 dst_sel:DWORD dst_unused:UNUSED_PAD src0_sel:DWORD src1_sel:WORD_1
	;; [unrolled: 1-line block ×4, first 2 shown]
	v_fma_f16 v36, v36, v15, -v44
	v_fmac_f16_e32 v45, v5, v15
	v_fma_f16 v5, v32, v16, -v46
	v_fmac_f16_e32 v47, v39, v16
	v_add_lshl_u32 v32, v37, v38, 2
	v_add_f16_e32 v37, v34, v36
	v_add_f16_e32 v40, v43, v45
	;; [unrolled: 1-line block ×3, first 2 shown]
	v_sub_f16_e32 v39, v45, v47
	v_add_f16_e32 v44, v45, v47
	v_sub_f16_e32 v45, v36, v5
	v_add_f16_e32 v46, v37, v5
	v_fmac_f16_e32 v34, -0.5, v38
	v_add_f16_e32 v47, v40, v47
	v_fmac_f16_e32 v43, -0.5, v44
	v_mul_f16_sdwa v37, v33, v13 dst_sel:DWORD dst_unused:UNUSED_PAD src0_sel:DWORD src1_sel:WORD_1
	v_mul_f16_sdwa v36, v31, v13 dst_sel:DWORD dst_unused:UNUSED_PAD src0_sel:DWORD src1_sel:WORD_1
	;; [unrolled: 1-line block ×4, first 2 shown]
	v_pack_b32_f16 v44, v46, v47
	v_fma_f16 v37, v31, v13, -v37
	v_fmac_f16_e32 v36, v33, v13
	v_fma_f16 v4, v4, v14, -v38
	v_fmac_f16_e32 v5, v6, v14
	v_fmamk_f16 v31, v39, 0x3aee, v34
	v_fmac_f16_e32 v34, 0xbaee, v39
	v_fmamk_f16 v33, v45, 0xbaee, v43
	v_add_f16_e32 v6, v37, v4
	v_add_f16_e32 v39, v36, v5
	v_fmac_f16_e32 v43, 0x3aee, v45
	v_sub_f16_e32 v38, v36, v5
	v_sub_f16_e32 v40, v37, v4
	v_fma_f16 v6, -0.5, v6, v7
	v_fma_f16 v39, -0.5, v39, v35
	v_pack_b32_f16 v45, v31, v33
	v_pack_b32_f16 v43, v34, v43
	v_mad_u16 v31, 0xe1, v41, v42
	v_fmamk_f16 v33, v38, 0xbaee, v6
	v_fmamk_f16 v34, v40, 0x3aee, v39
	ds_write2_b32 v32, v44, v45 offset1:75
	ds_write_b32 v32, v43 offset:600
	s_and_saveexec_b32 s0, vcc_lo
	s_cbranch_execz .LBB0_9
; %bb.8:
	v_mul_f16_e32 v40, 0x3aee, v40
	v_add_f16_e32 v35, v35, v36
	v_add_f16_e32 v7, v7, v37
	v_mul_f16_e32 v36, 0x3aee, v38
	v_sub_f16_e32 v37, v39, v40
	v_add_f16_e32 v5, v35, v5
	v_mov_b32_e32 v35, 2
	v_add_f16_e32 v4, v7, v4
	v_add_f16_e32 v6, v36, v6
	v_lshlrev_b32_sdwa v7, v35, v31 dst_sel:DWORD dst_unused:UNUSED_PAD src0_sel:DWORD src1_sel:WORD_0
	v_pack_b32_f16 v4, v4, v5
	v_pack_b32_f16 v5, v6, v37
	v_perm_b32 v6, v34, v33, 0x5040100
	ds_write2_b32 v7, v4, v5 offset1:75
	ds_write_b32 v7, v6 offset:600
.LBB0_9:
	s_or_b32 exec_lo, exec_lo, s0
	v_lshlrev_b32_e32 v4, 4, v23
	s_waitcnt lgkmcnt(0)
	s_barrier
	buffer_gl0_inv
	v_add_nc_u32_e32 v41, 0x700, v19
	global_load_dwordx4 v[4:7], v4, s[2:3] offset:880
	ds_read2_b32 v[35:36], v19 offset1:225
	ds_read2_b32 v[37:38], v41 offset0:2 offset1:227
	ds_read_b32 v42, v19 offset:3600
	v_add_co_u32 v39, s0, 0x1194, v17
	v_add_co_ci_u32_e64 v40, s0, 0, v18, s0
	s_waitcnt lgkmcnt(2)
	v_lshrrev_b32_e32 v43, 16, v36
	s_waitcnt lgkmcnt(1)
	v_lshrrev_b32_e32 v45, 16, v37
	;; [unrolled: 2-line block ×3, first 2 shown]
	v_lshrrev_b32_e32 v47, 16, v38
	v_lshrrev_b32_e32 v44, 16, v35
	s_waitcnt vmcnt(0)
	v_mul_f16_sdwa v48, v43, v4 dst_sel:DWORD dst_unused:UNUSED_PAD src0_sel:DWORD src1_sel:WORD_1
	v_mul_f16_sdwa v49, v36, v4 dst_sel:DWORD dst_unused:UNUSED_PAD src0_sel:DWORD src1_sel:WORD_1
	;; [unrolled: 1-line block ×8, first 2 shown]
	v_fma_f16 v36, v36, v4, -v48
	v_fmac_f16_e32 v49, v43, v4
	v_fma_f16 v37, v37, v5, -v50
	v_fmac_f16_e32 v51, v45, v5
	;; [unrolled: 2-line block ×3, first 2 shown]
	v_fmac_f16_e32 v53, v47, v6
	v_fma_f16 v42, v42, v7, -v54
	v_add_f16_e32 v43, v35, v36
	v_add_f16_e32 v45, v37, v38
	v_sub_f16_e32 v48, v36, v37
	v_add_f16_e32 v57, v44, v49
	v_sub_f16_e32 v50, v42, v38
	v_add_f16_e32 v52, v36, v42
	v_add_f16_e32 v58, v51, v53
	;; [unrolled: 1-line block ×3, first 2 shown]
	v_sub_f16_e32 v46, v49, v55
	v_sub_f16_e32 v47, v51, v53
	;; [unrolled: 1-line block ×7, first 2 shown]
	v_add_f16_e32 v37, v43, v37
	v_fma_f16 v43, -0.5, v45, v35
	v_add_f16_e32 v45, v48, v50
	v_fmac_f16_e32 v35, -0.5, v52
	v_add_f16_e32 v50, v57, v51
	v_fma_f16 v51, -0.5, v58, v44
	v_fmac_f16_e32 v44, -0.5, v62
	v_sub_f16_e32 v36, v36, v42
	v_sub_f16_e32 v63, v53, v55
	v_add_f16_e32 v48, v54, v56
	v_fmamk_f16 v54, v47, 0xbb9c, v35
	v_fmac_f16_e32 v35, 0x3b9c, v47
	v_fmamk_f16 v56, v59, 0x3b9c, v44
	v_fmac_f16_e32 v44, 0xbb9c, v59
	v_sub_f16_e32 v61, v55, v53
	v_add_f16_e32 v37, v37, v38
	v_fmamk_f16 v38, v46, 0x3b9c, v43
	v_add_f16_e32 v50, v50, v53
	v_fmamk_f16 v53, v36, 0xbb9c, v51
	v_fmac_f16_e32 v43, 0xbb9c, v46
	v_fmac_f16_e32 v51, 0x3b9c, v36
	v_add_f16_e32 v49, v49, v63
	v_fmac_f16_e32 v35, 0xb8b4, v46
	v_fmac_f16_e32 v44, 0x38b4, v36
	v_add_f16_e32 v52, v60, v61
	v_fmac_f16_e32 v38, 0x38b4, v47
	v_fmac_f16_e32 v53, 0xb8b4, v59
	;; [unrolled: 1-line block ×8, first 2 shown]
	v_add_f16_e32 v37, v37, v42
	v_add_f16_e32 v42, v50, v55
	v_fmac_f16_e32 v38, 0x34f2, v45
	v_fmac_f16_e32 v53, 0x34f2, v52
	;; [unrolled: 1-line block ×6, first 2 shown]
	v_pack_b32_f16 v44, v35, v44
	v_add_co_u32 v35, s0, 0x1000, v17
	v_pack_b32_f16 v37, v37, v42
	v_pack_b32_f16 v38, v38, v53
	v_add_co_ci_u32_e64 v36, s0, 0, v18, s0
	v_pack_b32_f16 v42, v54, v56
	v_pack_b32_f16 v43, v43, v51
	ds_write2_b32 v19, v37, v38 offset1:225
	ds_write2_b32 v41, v42, v44 offset0:2 offset1:227
	ds_write_b32 v19, v43 offset:3600
	s_waitcnt lgkmcnt(0)
	s_barrier
	buffer_gl0_inv
	s_clause 0x1
	global_load_dword v35, v[35:36], off offset:404
	global_load_dword v36, v[39:40], off offset:900
	v_add_co_u32 v17, s0, 0x1800, v17
	v_add_co_ci_u32_e64 v18, s0, 0, v18, s0
	s_clause 0x2
	global_load_dword v37, v[17:18], off offset:1056
	global_load_dword v38, v[17:18], off offset:1956
	;; [unrolled: 1-line block ×3, first 2 shown]
	ds_read2_b32 v[17:18], v19 offset1:225
	s_waitcnt lgkmcnt(0)
	v_lshrrev_b32_e32 v40, 16, v17
	v_lshrrev_b32_e32 v42, 16, v18
	s_waitcnt vmcnt(4)
	v_mul_f16_sdwa v43, v40, v35 dst_sel:DWORD dst_unused:UNUSED_PAD src0_sel:DWORD src1_sel:WORD_1
	v_mul_f16_sdwa v44, v17, v35 dst_sel:DWORD dst_unused:UNUSED_PAD src0_sel:DWORD src1_sel:WORD_1
	s_waitcnt vmcnt(3)
	v_mul_f16_sdwa v45, v42, v36 dst_sel:DWORD dst_unused:UNUSED_PAD src0_sel:DWORD src1_sel:WORD_1
	v_mul_f16_sdwa v46, v18, v36 dst_sel:DWORD dst_unused:UNUSED_PAD src0_sel:DWORD src1_sel:WORD_1
	v_fma_f16 v17, v17, v35, -v43
	v_fmac_f16_e32 v44, v40, v35
	v_fma_f16 v18, v18, v36, -v45
	v_fmac_f16_e32 v46, v42, v36
	v_pack_b32_f16 v17, v17, v44
	v_pack_b32_f16 v18, v18, v46
	ds_write2_b32 v19, v17, v18 offset1:225
	ds_read2_b32 v[17:18], v41 offset0:2 offset1:227
	ds_read_b32 v35, v19 offset:3600
	s_waitcnt lgkmcnt(1)
	v_lshrrev_b32_e32 v36, 16, v17
	s_waitcnt vmcnt(0)
	v_mul_f16_sdwa v40, v17, v39 dst_sel:DWORD dst_unused:UNUSED_PAD src0_sel:DWORD src1_sel:WORD_1
	v_lshrrev_b32_e32 v42, 16, v18
	s_waitcnt lgkmcnt(0)
	v_lshrrev_b32_e32 v44, 16, v35
	v_mul_f16_sdwa v43, v18, v37 dst_sel:DWORD dst_unused:UNUSED_PAD src0_sel:DWORD src1_sel:WORD_1
	v_mul_f16_sdwa v46, v36, v39 dst_sel:DWORD dst_unused:UNUSED_PAD src0_sel:DWORD src1_sel:WORD_1
	v_fmac_f16_e32 v40, v36, v39
	v_mul_f16_sdwa v36, v42, v37 dst_sel:DWORD dst_unused:UNUSED_PAD src0_sel:DWORD src1_sel:WORD_1
	v_mul_f16_sdwa v45, v35, v38 dst_sel:DWORD dst_unused:UNUSED_PAD src0_sel:DWORD src1_sel:WORD_1
	;; [unrolled: 1-line block ×3, first 2 shown]
	v_fmac_f16_e32 v43, v42, v37
	v_fma_f16 v17, v17, v39, -v46
	v_fma_f16 v18, v18, v37, -v36
	v_fmac_f16_e32 v45, v44, v38
	v_fma_f16 v35, v35, v38, -v47
	v_pack_b32_f16 v17, v17, v40
	v_pack_b32_f16 v18, v18, v43
	;; [unrolled: 1-line block ×3, first 2 shown]
	ds_write2_b32 v41, v17, v18 offset0:2 offset1:227
	ds_write_b32 v19, v35 offset:3600
	s_waitcnt lgkmcnt(0)
	s_barrier
	buffer_gl0_inv
	ds_read2_b32 v[17:18], v19 offset1:225
	ds_read2_b32 v[35:36], v41 offset0:2 offset1:227
	ds_read_b32 v37, v19 offset:3600
	s_waitcnt lgkmcnt(0)
	s_barrier
	buffer_gl0_inv
	v_pk_add_f16 v38, v17, v18
	v_pk_add_f16 v39, v35, v36
	v_pk_add_f16 v40, v18, v37 neg_lo:[0,1] neg_hi:[0,1]
	v_pk_add_f16 v42, v35, v36 neg_lo:[0,1] neg_hi:[0,1]
	v_pk_add_f16 v45, v18, v37
	v_pk_add_f16 v43, v18, v35 neg_lo:[0,1] neg_hi:[0,1]
	v_pk_fma_f16 v39, v39, 0.5, v17 op_sel_hi:[1,0,1] neg_lo:[1,0,0] neg_hi:[1,0,0]
	v_pk_mul_f16 v47, 0x3b9c, v40 op_sel_hi:[0,1]
	v_pk_mul_f16 v40, 0x38b4, v40 op_sel_hi:[0,1]
	v_pk_fma_f16 v17, v45, 0.5, v17 op_sel_hi:[1,0,1] neg_lo:[1,0,0] neg_hi:[1,0,0]
	v_pk_mul_f16 v45, 0x3b9c, v42 op_sel_hi:[0,1]
	v_pk_mul_f16 v42, 0x38b4, v42 op_sel_hi:[0,1]
	v_pk_add_f16 v48, v39, v47 op_sel:[0,1] op_sel_hi:[1,0] neg_lo:[0,1] neg_hi:[0,1]
	v_pk_add_f16 v39, v39, v47 op_sel:[0,1] op_sel_hi:[1,0]
	v_pk_add_f16 v44, v37, v36 neg_lo:[0,1] neg_hi:[0,1]
	v_pk_add_f16 v47, v17, v45 op_sel:[0,1] op_sel_hi:[1,0]
	v_pk_add_f16 v17, v17, v45 op_sel:[0,1] op_sel_hi:[1,0] neg_lo:[0,1] neg_hi:[0,1]
	v_pk_add_f16 v18, v35, v18 neg_lo:[0,1] neg_hi:[0,1]
	v_pk_add_f16 v35, v38, v35
	v_pk_add_f16 v38, v48, v42 op_sel:[0,1] op_sel_hi:[1,0] neg_lo:[0,1] neg_hi:[0,1]
	v_pk_add_f16 v39, v39, v42 op_sel:[0,1] op_sel_hi:[1,0]
	v_pk_add_f16 v46, v36, v37 neg_lo:[0,1] neg_hi:[0,1]
	v_pk_add_f16 v42, v47, v40 op_sel:[0,1] op_sel_hi:[1,0] neg_lo:[0,1] neg_hi:[0,1]
	v_pk_add_f16 v17, v17, v40 op_sel:[0,1] op_sel_hi:[1,0]
	v_pk_add_f16 v40, v43, v44
	v_pk_add_f16 v35, v35, v36
	v_bfi_b32 v36, 0xffff, v38, v39
	v_pk_add_f16 v18, v18, v46
	v_bfi_b32 v43, 0xffff, v42, v17
	v_bfi_b32 v17, 0xffff, v17, v42
	;; [unrolled: 1-line block ×3, first 2 shown]
	v_pk_add_f16 v35, v35, v37
	v_pk_fma_f16 v36, 0x34f2, v40, v36 op_sel_hi:[0,1,1]
	v_pk_fma_f16 v37, 0x34f2, v18, v43 op_sel_hi:[0,1,1]
	;; [unrolled: 1-line block ×4, first 2 shown]
	ds_write2_b32 v29, v35, v36 offset1:1
	ds_write2_b32 v29, v37, v17 offset0:2 offset1:3
	ds_write_b32 v29, v18 offset:16
	s_waitcnt lgkmcnt(0)
	s_barrier
	buffer_gl0_inv
	ds_read2_b32 v[17:18], v19 offset1:225
	ds_read2_b32 v[35:36], v41 offset0:2 offset1:227
	ds_read_b32 v37, v19 offset:3600
	s_waitcnt lgkmcnt(0)
	s_barrier
	buffer_gl0_inv
	v_lshrrev_b32_e32 v38, 16, v18
	v_lshrrev_b32_e32 v39, 16, v35
	;; [unrolled: 1-line block ×3, first 2 shown]
	v_mul_f16_sdwa v42, v0, v18 dst_sel:DWORD dst_unused:UNUSED_PAD src0_sel:WORD_1 src1_sel:DWORD
	v_mul_f16_sdwa v43, v1, v35 dst_sel:DWORD dst_unused:UNUSED_PAD src0_sel:WORD_1 src1_sel:DWORD
	v_lshrrev_b32_e32 v41, 16, v37
	v_mul_f16_sdwa v44, v2, v36 dst_sel:DWORD dst_unused:UNUSED_PAD src0_sel:WORD_1 src1_sel:DWORD
	v_mul_f16_sdwa v45, v3, v37 dst_sel:DWORD dst_unused:UNUSED_PAD src0_sel:WORD_1 src1_sel:DWORD
	;; [unrolled: 1-line block ×3, first 2 shown]
	v_fma_f16 v38, v0, v38, -v42
	v_mul_f16_sdwa v42, v1, v39 dst_sel:DWORD dst_unused:UNUSED_PAD src0_sel:WORD_1 src1_sel:DWORD
	v_fma_f16 v39, v1, v39, -v43
	v_mul_f16_sdwa v43, v2, v40 dst_sel:DWORD dst_unused:UNUSED_PAD src0_sel:WORD_1 src1_sel:DWORD
	;; [unrolled: 2-line block ×3, first 2 shown]
	v_lshrrev_b32_e32 v29, 16, v17
	v_fma_f16 v41, v3, v41, -v45
	v_fmac_f16_e32 v46, v0, v18
	v_fmac_f16_e32 v42, v1, v35
	;; [unrolled: 1-line block ×4, first 2 shown]
	v_add_f16_e32 v0, v29, v38
	v_add_f16_e32 v1, v39, v40
	;; [unrolled: 1-line block ×6, first 2 shown]
	v_sub_f16_e32 v2, v38, v41
	v_sub_f16_e32 v3, v39, v40
	;; [unrolled: 1-line block ×6, first 2 shown]
	v_add_f16_e32 v39, v0, v39
	v_fma_f16 v0, -0.5, v1, v29
	v_sub_f16_e32 v46, v46, v44
	v_fmac_f16_e32 v29, -0.5, v36
	v_add_f16_e32 v36, v45, v42
	v_fma_f16 v1, -0.5, v47, v17
	v_sub_f16_e32 v53, v42, v43
	v_fmac_f16_e32 v17, -0.5, v50
	v_sub_f16_e32 v35, v41, v40
	v_sub_f16_e32 v38, v40, v41
	;; [unrolled: 1-line block ×4, first 2 shown]
	v_add_f16_e32 v39, v39, v40
	v_fmamk_f16 v40, v46, 0x3b9c, v0
	v_add_f16_e32 v36, v36, v43
	v_fmamk_f16 v43, v2, 0xbb9c, v1
	v_fmamk_f16 v42, v53, 0xbb9c, v29
	v_fmac_f16_e32 v29, 0x3b9c, v53
	v_fmamk_f16 v45, v3, 0x3b9c, v17
	v_fmac_f16_e32 v17, 0xbb9c, v3
	v_fmac_f16_e32 v0, 0xbb9c, v46
	v_fmac_f16_e32 v1, 0x3b9c, v2
	v_add_f16_e32 v18, v18, v35
	v_add_f16_e32 v35, v37, v38
	;; [unrolled: 1-line block ×3, first 2 shown]
	v_fmac_f16_e32 v40, 0x38b4, v53
	v_fmac_f16_e32 v43, 0xb8b4, v3
	v_add_f16_e32 v38, v51, v52
	v_fmac_f16_e32 v42, 0x38b4, v46
	v_fmac_f16_e32 v29, 0xb8b4, v46
	;; [unrolled: 1-line block ×6, first 2 shown]
	v_add_f16_e32 v39, v39, v41
	v_add_f16_e32 v36, v36, v44
	v_fmac_f16_e32 v40, 0x34f2, v18
	v_fmac_f16_e32 v43, 0x34f2, v37
	;; [unrolled: 1-line block ×8, first 2 shown]
	v_pack_b32_f16 v2, v36, v39
	v_pack_b32_f16 v3, v43, v40
	;; [unrolled: 1-line block ×5, first 2 shown]
	ds_write2_b32 v26, v2, v3 offset1:5
	ds_write2_b32 v26, v18, v35 offset0:10 offset1:15
	ds_write_b32 v26, v36 offset:80
	s_waitcnt lgkmcnt(0)
	s_barrier
	buffer_gl0_inv
	ds_read_b32 v18, v19
	ds_read_b32 v2, v19 offset:1500
	ds_read_b32 v3, v19 offset:3000
	s_and_saveexec_b32 s0, vcc_lo
	s_cbranch_execz .LBB0_11
; %bb.10:
	ds_read_b32 v17, v19 offset:900
	ds_read_b32 v1, v19 offset:2400
	;; [unrolled: 1-line block ×3, first 2 shown]
	s_waitcnt lgkmcnt(2)
	v_lshrrev_b32_e32 v29, 16, v17
	s_waitcnt lgkmcnt(1)
	v_lshrrev_b32_e32 v0, 16, v1
	;; [unrolled: 2-line block ×3, first 2 shown]
.LBB0_11:
	s_or_b32 exec_lo, exec_lo, s0
	s_waitcnt lgkmcnt(1)
	v_lshrrev_b32_e32 v26, 16, v2
	s_waitcnt lgkmcnt(0)
	v_lshrrev_b32_e32 v35, 16, v3
	v_mul_f16_sdwa v37, v11, v2 dst_sel:DWORD dst_unused:UNUSED_PAD src0_sel:WORD_1 src1_sel:DWORD
	v_mul_f16_sdwa v40, v12, v3 dst_sel:DWORD dst_unused:UNUSED_PAD src0_sel:WORD_1 src1_sel:DWORD
	;; [unrolled: 1-line block ×5, first 2 shown]
	v_lshrrev_b32_e32 v36, 16, v18
	v_fma_f16 v26, v11, v26, -v37
	v_fmac_f16_e32 v41, v9, v1
	v_fmac_f16_e32 v38, v11, v2
	;; [unrolled: 1-line block ×3, first 2 shown]
	v_mul_f16_sdwa v2, v9, v1 dst_sel:DWORD dst_unused:UNUSED_PAD src0_sel:WORD_1 src1_sel:DWORD
	v_fma_f16 v3, v12, v35, -v40
	v_mul_f16_sdwa v11, v10, v34 dst_sel:DWORD dst_unused:UNUSED_PAD src0_sel:WORD_1 src1_sel:DWORD
	v_mul_f16_sdwa v1, v10, v33 dst_sel:DWORD dst_unused:UNUSED_PAD src0_sel:WORD_1 src1_sel:DWORD
	v_add_f16_e32 v12, v36, v26
	v_fma_f16 v0, v9, v0, -v2
	v_add_f16_e32 v2, v38, v39
	v_fmac_f16_e32 v11, v10, v33
	v_add_f16_e32 v9, v18, v38
	v_fma_f16 v1, v10, v34, -v1
	v_add_f16_e32 v10, v26, v3
	v_fmac_f16_e32 v18, -0.5, v2
	v_sub_f16_e32 v2, v26, v3
	v_add_f16_e32 v12, v12, v3
	v_add_f16_e32 v3, v0, v1
	v_fmac_f16_e32 v36, -0.5, v10
	v_sub_f16_e32 v10, v38, v39
	v_fmamk_f16 v26, v2, 0xbaee, v18
	v_fmac_f16_e32 v18, 0x3aee, v2
	v_add_f16_e32 v2, v41, v11
	v_add_f16_e32 v9, v9, v39
	v_fmamk_f16 v33, v10, 0x3aee, v36
	v_fmac_f16_e32 v36, 0xbaee, v10
	v_add_f16_e32 v10, v17, v41
	v_fmac_f16_e32 v17, -0.5, v2
	v_sub_f16_e32 v34, v0, v1
	v_add_f16_e32 v35, v29, v0
	v_fmac_f16_e32 v29, -0.5, v3
	v_sub_f16_e32 v37, v41, v11
	v_add_f16_e32 v0, v10, v11
	v_fmamk_f16 v2, v34, 0xbaee, v17
	v_fmac_f16_e32 v17, 0x3aee, v34
	v_add_f16_e32 v1, v35, v1
	v_fmamk_f16 v3, v37, 0x3aee, v29
	v_fmac_f16_e32 v29, 0xbaee, v37
	v_pack_b32_f16 v9, v9, v12
	v_pack_b32_f16 v10, v26, v33
	;; [unrolled: 1-line block ×3, first 2 shown]
	s_barrier
	buffer_gl0_inv
	ds_write2_b32 v30, v9, v10 offset1:25
	ds_write_b32 v30, v11 offset:200
	s_and_saveexec_b32 s0, vcc_lo
	s_cbranch_execz .LBB0_13
; %bb.12:
	v_mad_u16 v9, 0x4b, v27, v28
	v_mov_b32_e32 v10, 2
	v_perm_b32 v11, v1, v0, 0x5040100
	v_perm_b32 v12, v3, v2, 0x5040100
	v_lshlrev_b32_sdwa v9, v10, v9 dst_sel:DWORD dst_unused:UNUSED_PAD src0_sel:DWORD src1_sel:WORD_0
	v_perm_b32 v10, v29, v17, 0x5040100
	ds_write2_b32 v9, v11, v12 offset1:25
	ds_write_b32 v9, v10 offset:200
.LBB0_13:
	s_or_b32 exec_lo, exec_lo, s0
	s_waitcnt lgkmcnt(0)
	s_barrier
	buffer_gl0_inv
	ds_read_b32 v9, v19
	ds_read_b32 v10, v19 offset:1500
	ds_read_b32 v11, v19 offset:3000
	s_and_saveexec_b32 s0, vcc_lo
	s_cbranch_execz .LBB0_15
; %bb.14:
	ds_read_b32 v0, v19 offset:900
	ds_read_b32 v2, v19 offset:2400
	ds_read_b32 v17, v19 offset:3900
	s_waitcnt lgkmcnt(2)
	v_lshrrev_b32_e32 v1, 16, v0
	s_waitcnt lgkmcnt(1)
	v_lshrrev_b32_e32 v3, 16, v2
	;; [unrolled: 2-line block ×3, first 2 shown]
.LBB0_15:
	s_or_b32 exec_lo, exec_lo, s0
	s_waitcnt lgkmcnt(1)
	v_lshrrev_b32_e32 v12, 16, v10
	s_waitcnt lgkmcnt(0)
	v_lshrrev_b32_e32 v18, 16, v11
	v_mul_f16_sdwa v26, v15, v10 dst_sel:DWORD dst_unused:UNUSED_PAD src0_sel:WORD_1 src1_sel:DWORD
	v_mul_f16_sdwa v27, v16, v11 dst_sel:DWORD dst_unused:UNUSED_PAD src0_sel:WORD_1 src1_sel:DWORD
	;; [unrolled: 1-line block ×4, first 2 shown]
	v_fma_f16 v12, v15, v12, -v26
	v_fma_f16 v18, v16, v18, -v27
	v_lshrrev_b32_e32 v26, 16, v9
	v_fmac_f16_e32 v28, v15, v10
	v_fmac_f16_e32 v30, v16, v11
	s_barrier
	v_add_f16_e32 v10, v12, v18
	v_add_f16_e32 v11, v26, v12
	;; [unrolled: 1-line block ×4, first 2 shown]
	v_sub_f16_e32 v12, v12, v18
	v_fmac_f16_e32 v26, -0.5, v10
	v_sub_f16_e32 v10, v28, v30
	v_add_f16_e32 v11, v11, v18
	v_fmac_f16_e32 v9, -0.5, v15
	v_add_f16_e32 v15, v16, v30
	buffer_gl0_inv
	v_fmamk_f16 v16, v10, 0x3aee, v26
	v_fmac_f16_e32 v26, 0xbaee, v10
	v_fmamk_f16 v10, v12, 0xbaee, v9
	v_fmac_f16_e32 v9, 0x3aee, v12
	v_pack_b32_f16 v11, v15, v11
	v_pack_b32_f16 v10, v10, v16
	;; [unrolled: 1-line block ×3, first 2 shown]
	ds_write2_b32 v32, v11, v10 offset1:75
	ds_write_b32 v32, v9 offset:600
	s_and_saveexec_b32 s0, vcc_lo
	s_cbranch_execz .LBB0_17
; %bb.16:
	v_mul_f16_sdwa v9, v13, v2 dst_sel:DWORD dst_unused:UNUSED_PAD src0_sel:WORD_1 src1_sel:DWORD
	v_mul_f16_sdwa v10, v14, v17 dst_sel:DWORD dst_unused:UNUSED_PAD src0_sel:WORD_1 src1_sel:DWORD
	;; [unrolled: 1-line block ×4, first 2 shown]
	v_fma_f16 v3, v13, v3, -v9
	v_fma_f16 v9, v14, v29, -v10
	v_fmac_f16_e32 v11, v13, v2
	v_fmac_f16_e32 v12, v14, v17
	v_mov_b32_e32 v10, 2
	v_add_f16_e32 v15, v1, v3
	v_add_f16_e32 v2, v3, v9
	;; [unrolled: 1-line block ×3, first 2 shown]
	v_sub_f16_e32 v14, v11, v12
	v_fma_f16 v1, -0.5, v2, v1
	v_sub_f16_e32 v2, v3, v9
	v_fma_f16 v3, -0.5, v13, v0
	v_add_f16_e32 v0, v0, v11
	v_add_f16_e32 v9, v15, v9
	v_fmamk_f16 v11, v14, 0xbaee, v1
	v_fmac_f16_e32 v1, 0x3aee, v14
	v_fmamk_f16 v13, v2, 0x3aee, v3
	v_add_f16_e32 v0, v0, v12
	v_fmac_f16_e32 v3, 0xbaee, v2
	v_lshlrev_b32_sdwa v2, v10, v31 dst_sel:DWORD dst_unused:UNUSED_PAD src0_sel:DWORD src1_sel:WORD_0
	v_pack_b32_f16 v0, v0, v9
	v_pack_b32_f16 v1, v3, v1
	;; [unrolled: 1-line block ×3, first 2 shown]
	ds_write2_b32 v2, v0, v1 offset1:75
	ds_write_b32 v2, v3 offset:600
.LBB0_17:
	s_or_b32 exec_lo, exec_lo, s0
	s_waitcnt lgkmcnt(0)
	s_barrier
	buffer_gl0_inv
	ds_read2_b32 v[0:1], v19 offset1:225
	v_add_nc_u32_e32 v9, 0x700, v19
	ds_read_b32 v10, v19 offset:3600
	ds_read2_b32 v[2:3], v9 offset0:2 offset1:227
	s_mov_b32 s6, 0x5a912e32
	s_mov_b32 s7, 0x3f4d208a
	s_mul_i32 s3, s8, 0x384
	s_waitcnt lgkmcnt(2)
	v_lshrrev_b32_e32 v12, 16, v1
	v_mul_f16_sdwa v14, v4, v1 dst_sel:DWORD dst_unused:UNUSED_PAD src0_sel:WORD_1 src1_sel:DWORD
	v_lshrrev_b32_e32 v11, 16, v0
	s_waitcnt lgkmcnt(1)
	v_lshrrev_b32_e32 v13, 16, v10
	s_waitcnt lgkmcnt(0)
	v_lshrrev_b32_e32 v16, 16, v2
	v_lshrrev_b32_e32 v17, 16, v3
	v_mul_f16_sdwa v18, v4, v12 dst_sel:DWORD dst_unused:UNUSED_PAD src0_sel:WORD_1 src1_sel:DWORD
	v_fma_f16 v12, v4, v12, -v14
	v_mul_f16_sdwa v14, v5, v2 dst_sel:DWORD dst_unused:UNUSED_PAD src0_sel:WORD_1 src1_sel:DWORD
	v_mul_f16_sdwa v27, v7, v13 dst_sel:DWORD dst_unused:UNUSED_PAD src0_sel:WORD_1 src1_sel:DWORD
	;; [unrolled: 1-line block ×3, first 2 shown]
	v_fmac_f16_e32 v18, v4, v1
	v_mul_f16_sdwa v1, v5, v16 dst_sel:DWORD dst_unused:UNUSED_PAD src0_sel:WORD_1 src1_sel:DWORD
	v_fma_f16 v4, v5, v16, -v14
	v_mul_f16_sdwa v14, v6, v17 dst_sel:DWORD dst_unused:UNUSED_PAD src0_sel:WORD_1 src1_sel:DWORD
	v_mul_f16_sdwa v26, v6, v3 dst_sel:DWORD dst_unused:UNUSED_PAD src0_sel:WORD_1 src1_sel:DWORD
	v_fmac_f16_e32 v27, v7, v10
	v_fmac_f16_e32 v1, v5, v2
	v_fma_f16 v13, v7, v13, -v15
	v_fmac_f16_e32 v14, v6, v3
	v_fma_f16 v15, v6, v17, -v26
	v_add_f16_e32 v5, v18, v27
	v_add_f16_e32 v10, v11, v12
	;; [unrolled: 1-line block ×4, first 2 shown]
	v_sub_f16_e32 v3, v4, v15
	v_sub_f16_e32 v17, v18, v27
	v_sub_f16_e32 v28, v18, v1
	v_sub_f16_e32 v18, v1, v18
	v_sub_f16_e32 v30, v14, v27
	v_fma_f16 v26, -0.5, v26, v0
	v_fmac_f16_e32 v0, -0.5, v5
	v_sub_f16_e32 v7, v12, v13
	v_add_f16_e32 v6, v10, v4
	v_add_f16_e32 v10, v4, v15
	;; [unrolled: 1-line block ×3, first 2 shown]
	v_fmamk_f16 v30, v3, 0x3b9c, v0
	v_fmac_f16_e32 v0, 0xbb9c, v3
	v_add_f16_e32 v16, v12, v13
	v_sub_f16_e32 v29, v27, v14
	v_fma_f16 v10, -0.5, v10, v11
	v_fmamk_f16 v18, v7, 0xbb9c, v26
	v_fmac_f16_e32 v26, 0x3b9c, v7
	v_fmac_f16_e32 v30, 0xb8b4, v7
	;; [unrolled: 1-line block ×3, first 2 shown]
	v_add_f16_e32 v2, v2, v1
	v_sub_f16_e32 v1, v1, v14
	v_fmac_f16_e32 v11, -0.5, v16
	v_add_f16_e32 v28, v28, v29
	v_fmamk_f16 v29, v17, 0x3b9c, v10
	v_fmac_f16_e32 v18, 0xb8b4, v3
	v_fmac_f16_e32 v26, 0x38b4, v3
	v_fmac_f16_e32 v30, 0x34f2, v5
	v_fmac_f16_e32 v0, 0x34f2, v5
	v_add_f16_e32 v3, v6, v15
	v_sub_f16_e32 v5, v12, v4
	v_sub_f16_e32 v6, v13, v15
	v_fmamk_f16 v7, v1, 0xbb9c, v11
	v_sub_f16_e32 v4, v4, v12
	v_sub_f16_e32 v12, v15, v13
	v_fmac_f16_e32 v11, 0x3b9c, v1
	v_fmac_f16_e32 v10, 0xbb9c, v17
	v_add_f16_e32 v2, v2, v14
	v_fmac_f16_e32 v29, 0x38b4, v1
	v_add_f16_e32 v5, v5, v6
	;; [unrolled: 2-line block ×3, first 2 shown]
	v_fmac_f16_e32 v11, 0xb8b4, v17
	v_fmac_f16_e32 v10, 0xb8b4, v1
	v_add_f16_e32 v2, v2, v27
	v_fmac_f16_e32 v18, 0x34f2, v28
	v_add_f16_e32 v1, v3, v13
	v_fmac_f16_e32 v29, 0x34f2, v5
	v_fmac_f16_e32 v7, 0x34f2, v4
	;; [unrolled: 1-line block ×5, first 2 shown]
	v_pack_b32_f16 v1, v2, v1
	v_pack_b32_f16 v2, v18, v29
	v_pack_b32_f16 v3, v30, v7
	v_pack_b32_f16 v0, v0, v11
	v_pack_b32_f16 v4, v26, v10
	ds_write2_b32 v19, v1, v2 offset1:225
	ds_write2_b32 v9, v3, v0 offset0:2 offset1:227
	ds_write_b32 v19, v4 offset:3600
	s_waitcnt lgkmcnt(0)
	s_barrier
	buffer_gl0_inv
	ds_read2_b32 v[0:1], v19 offset1:225
	v_mad_u64_u32 v[11:12], null, s10, v8, 0
	v_mad_u64_u32 v[13:14], null, s8, v23, 0
	;; [unrolled: 1-line block ×3, first 2 shown]
	v_mov_b32_e32 v8, v14
	v_mov_b32_e32 v12, v15
	s_waitcnt lgkmcnt(0)
	v_lshrrev_b32_e32 v2, 16, v0
	v_mul_f16_sdwa v3, v25, v0 dst_sel:DWORD dst_unused:UNUSED_PAD src0_sel:WORD_1 src1_sel:DWORD
	v_lshrrev_b32_e32 v4, 16, v1
	v_mul_f16_sdwa v5, v24, v1 dst_sel:DWORD dst_unused:UNUSED_PAD src0_sel:WORD_1 src1_sel:DWORD
	v_mul_f16_sdwa v6, v25, v2 dst_sel:DWORD dst_unused:UNUSED_PAD src0_sel:WORD_1 src1_sel:DWORD
	v_fma_f16 v3, v25, v2, -v3
	v_mul_f16_sdwa v10, v24, v4 dst_sel:DWORD dst_unused:UNUSED_PAD src0_sel:WORD_1 src1_sel:DWORD
	v_fma_f16 v5, v24, v4, -v5
	v_fmac_f16_e32 v6, v25, v0
	v_cvt_f32_f16_e32 v2, v3
	v_fmac_f16_e32 v10, v24, v1
	v_cvt_f32_f16_e32 v0, v5
	ds_read2_b32 v[4:5], v9 offset0:2 offset1:227
	v_cvt_f32_f16_e32 v9, v6
	v_cvt_f64_f32_e32 v[2:3], v2
	v_cvt_f64_f32_e32 v[6:7], v0
	;; [unrolled: 1-line block ×3, first 2 shown]
	v_cvt_f32_f16_e32 v9, v10
	v_cvt_f64_f32_e32 v[9:10], v9
	s_waitcnt lgkmcnt(0)
	v_lshrrev_b32_e32 v24, 16, v4
	v_mul_f64 v[2:3], v[2:3], s[6:7]
	v_mul_f16_sdwa v17, v22, v24 dst_sel:DWORD dst_unused:UNUSED_PAD src0_sel:WORD_1 src1_sel:DWORD
	v_mul_f64 v[6:7], v[6:7], s[6:7]
	v_mul_f64 v[0:1], v[0:1], s[6:7]
	v_fmac_f16_e32 v17, v22, v4
	v_mul_f16_sdwa v4, v22, v4 dst_sel:DWORD dst_unused:UNUSED_PAD src0_sel:WORD_1 src1_sel:DWORD
	v_mul_f64 v[9:10], v[9:10], s[6:7]
	v_cvt_f32_f16_e32 v14, v17
	v_and_or_b32 v2, 0x1ff, v3, v2
	v_and_or_b32 v6, 0x1ff, v7, v6
	v_lshrrev_b32_e32 v15, 8, v7
	v_and_or_b32 v0, 0x1ff, v1, v0
	v_cmp_ne_u32_e32 vcc_lo, 0, v2
	v_lshrrev_b32_e32 v25, 8, v1
	v_bfe_u32 v26, v1, 20, 11
	v_lshrrev_b32_e32 v1, 16, v1
	v_cndmask_b32_e64 v2, 0, 1, vcc_lo
	v_cmp_ne_u32_e32 vcc_lo, 0, v0
	v_mad_u64_u32 v[16:17], null, s9, v23, v[8:9]
	v_cvt_f64_f32_e32 v[17:18], v14
	v_bfe_u32 v14, v3, 20, 11
	v_cndmask_b32_e64 v0, 0, 1, vcc_lo
	v_lshrrev_b32_e32 v8, 8, v3
	v_sub_nc_u32_e32 v30, 0x3f1, v26
	v_and_or_b32 v9, 0x1ff, v10, v9
	v_sub_nc_u32_e32 v27, 0x3f1, v14
	v_and_or_b32 v0, 0xffe, v25, v0
	v_and_or_b32 v2, 0xffe, v8, v2
	v_med3_i32 v25, v30, 0, 13
	v_cmp_ne_u32_e32 vcc_lo, 0, v9
	v_med3_i32 v8, v27, 0, 13
	v_or_b32_e32 v27, 0x1000, v0
	v_or_b32_e32 v30, 0x1000, v2
	v_add_nc_u32_e32 v14, 0xfffffc10, v14
	v_cndmask_b32_e64 v9, 0, 1, vcc_lo
	v_cmp_ne_u32_e32 vcc_lo, 0, v2
	v_lshrrev_b32_e32 v33, v25, v27
	v_lshrrev_b32_e32 v34, v8, v30
	v_lshl_or_b32 v32, v14, 12, v2
	v_lshrrev_b32_e32 v28, 8, v10
	v_cndmask_b32_e64 v2, 0, 1, vcc_lo
	v_lshlrev_b32_e32 v25, v25, v33
	v_lshlrev_b32_e32 v8, v8, v34
	v_bfe_u32 v29, v10, 20, 11
	v_and_or_b32 v9, 0xffe, v28, v9
	v_add_nc_u32_e32 v26, 0xfffffc10, v26
	v_cmp_ne_u32_e32 vcc_lo, v25, v27
	v_lshl_or_b32 v2, v2, 9, 0x7c00
	v_sub_nc_u32_e32 v31, 0x3f1, v29
	v_or_b32_e32 v35, 0x1000, v9
	v_add_nc_u32_e32 v29, 0xfffffc10, v29
	v_cndmask_b32_e64 v25, 0, 1, vcc_lo
	v_cmp_ne_u32_e32 vcc_lo, v8, v30
	v_med3_i32 v28, v31, 0, 13
	v_lshl_or_b32 v31, v26, 12, v0
	v_lshl_or_b32 v30, v29, 12, v9
	v_or_b32_e32 v25, v33, v25
	v_cndmask_b32_e64 v8, 0, 1, vcc_lo
	v_cmp_ne_u32_e32 vcc_lo, 0, v0
	v_lshrrev_b32_e32 v27, v28, v35
	v_lshrrev_b32_e32 v3, 16, v3
	v_bfe_u32 v23, v7, 20, 11
	v_or_b32_e32 v8, v34, v8
	v_cndmask_b32_e64 v0, 0, 1, vcc_lo
	v_cmp_gt_i32_e32 vcc_lo, 1, v26
	v_lshlrev_b32_e32 v28, v28, v27
	v_lshrrev_b32_e32 v10, 16, v10
	v_lshl_or_b32 v0, v0, 9, 0x7c00
	v_cndmask_b32_e32 v25, v31, v25, vcc_lo
	v_cmp_gt_i32_e32 vcc_lo, 1, v14
	v_and_b32_e32 v31, 7, v25
	v_cndmask_b32_e32 v8, v32, v8, vcc_lo
	v_cmp_ne_u32_e32 vcc_lo, v28, v35
	v_lshrrev_b32_e32 v25, 2, v25
	v_cmp_eq_u32_e64 s0, 3, v31
	v_and_b32_e32 v32, 7, v8
	v_cndmask_b32_e64 v28, 0, 1, vcc_lo
	v_cmp_lt_i32_e32 vcc_lo, 5, v31
	v_lshrrev_b32_e32 v8, 2, v8
	v_cmp_lt_i32_e64 s1, 5, v32
	v_cmp_eq_u32_e64 s2, 3, v32
	s_or_b32 vcc_lo, s0, vcc_lo
	v_or_b32_e32 v27, v27, v28
	v_add_co_ci_u32_e32 v25, vcc_lo, 0, v25, vcc_lo
	s_or_b32 vcc_lo, s2, s1
	s_mul_i32 s1, s9, 0x384
	v_add_co_ci_u32_e32 v8, vcc_lo, 0, v8, vcc_lo
	v_cmp_gt_i32_e32 vcc_lo, 31, v26
	s_mul_hi_u32 s2, s8, 0x384
	s_add_i32 s2, s2, s1
	v_cndmask_b32_e32 v25, 0x7c00, v25, vcc_lo
	v_cmp_gt_i32_e32 vcc_lo, 31, v14
	v_cndmask_b32_e32 v8, 0x7c00, v8, vcc_lo
	v_cmp_eq_u32_e32 vcc_lo, 0x40f, v26
	v_cndmask_b32_e32 v0, v25, v0, vcc_lo
	v_cmp_gt_i32_e32 vcc_lo, 1, v29
	v_and_or_b32 v0, 0x8000, v1, v0
	v_cndmask_b32_e32 v25, v30, v27, vcc_lo
	v_cmp_eq_u32_e32 vcc_lo, 0x40f, v14
	v_mov_b32_e32 v14, v16
	v_and_b32_e32 v0, 0xffff, v0
	v_cndmask_b32_e32 v2, v8, v2, vcc_lo
	v_cmp_ne_u32_e32 vcc_lo, 0, v6
	v_and_b32_e32 v6, 7, v25
	v_and_or_b32 v2, 0x8000, v3, v2
	v_cndmask_b32_e64 v1, 0, 1, vcc_lo
	v_sub_nc_u32_e32 v3, 0x3f1, v23
	v_cmp_lt_i32_e32 vcc_lo, 5, v6
	v_cmp_eq_u32_e64 s0, 3, v6
	v_lshl_or_b32 v16, v2, 16, v0
	v_and_or_b32 v15, 0xffe, v15, v1
	v_mul_f64 v[0:1], v[17:18], s[6:7]
	v_lshrrev_b32_e32 v6, 2, v25
	v_med3_i32 v17, v3, 0, 13
	v_lshlrev_b64 v[2:3], 2, v[11:12]
	s_or_b32 vcc_lo, s0, vcc_lo
	v_or_b32_e32 v8, 0x1000, v15
	v_add_co_ci_u32_e32 v6, vcc_lo, 0, v6, vcc_lo
	v_add_co_u32 v12, vcc_lo, s4, v2
	v_add_co_ci_u32_e32 v18, vcc_lo, s5, v3, vcc_lo
	v_lshrrev_b32_e32 v11, v17, v8
	v_cmp_gt_i32_e32 vcc_lo, 31, v29
	v_fma_f16 v3, v22, v24, -v4
	v_lshlrev_b32_e32 v2, v17, v11
	v_cndmask_b32_e32 v6, 0x7c00, v6, vcc_lo
	v_cmp_ne_u32_e32 vcc_lo, 0, v9
	v_add_nc_u32_e32 v17, 0xfffffc10, v23
	v_and_or_b32 v0, 0x1ff, v1, v0
	v_cvt_f32_f16_e32 v3, v3
	v_bfe_u32 v22, v1, 20, 11
	v_cndmask_b32_e64 v4, 0, 1, vcc_lo
	v_cmp_ne_u32_e32 vcc_lo, v2, v8
	v_lshl_or_b32 v9, v17, 12, v15
	v_lshl_or_b32 v4, v4, 9, 0x7c00
	v_cndmask_b32_e64 v2, 0, 1, vcc_lo
	v_cmp_ne_u32_e32 vcc_lo, 0, v0
	v_or_b32_e32 v8, v11, v2
	v_cndmask_b32_e64 v0, 0, 1, vcc_lo
	v_cmp_gt_i32_e32 vcc_lo, 1, v17
	v_cvt_f64_f32_e32 v[2:3], v3
	v_lshrrev_b32_e32 v11, 8, v1
	v_cndmask_b32_e32 v23, v9, v8, vcc_lo
	v_cmp_eq_u32_e32 vcc_lo, 0x40f, v29
	v_and_or_b32 v0, 0xffe, v11, v0
	v_lshlrev_b64 v[8:9], 2, v[13:14]
	v_lshrrev_b32_e32 v14, 16, v5
	v_and_b32_e32 v11, 7, v23
	v_cndmask_b32_e32 v4, v6, v4, vcc_lo
	v_sub_nc_u32_e32 v6, 0x3f1, v22
	v_or_b32_e32 v13, 0x1000, v0
	v_cmp_lt_i32_e32 vcc_lo, 5, v11
	v_cmp_eq_u32_e64 s0, 3, v11
	v_and_or_b32 v4, 0x8000, v10, v4
	v_lshrrev_b32_e32 v10, 2, v23
	v_med3_i32 v6, v6, 0, 13
	v_mul_f16_sdwa v23, v21, v14 dst_sel:DWORD dst_unused:UNUSED_PAD src0_sel:WORD_1 src1_sel:DWORD
	s_or_b32 vcc_lo, s0, vcc_lo
	v_and_b32_e32 v4, 0xffff, v4
	v_add_co_ci_u32_e32 v10, vcc_lo, 0, v10, vcc_lo
	v_lshrrev_b32_e32 v11, v6, v13
	v_cmp_ne_u32_e32 vcc_lo, 0, v15
	v_mul_f64 v[2:3], v[2:3], s[6:7]
	v_fmac_f16_e32 v23, v21, v5
	v_mul_f16_sdwa v5, v21, v5 dst_sel:DWORD dst_unused:UNUSED_PAD src0_sel:WORD_1 src1_sel:DWORD
	v_lshlrev_b32_e32 v6, v6, v11
	v_cndmask_b32_e64 v15, 0, 1, vcc_lo
	v_cmp_gt_i32_e32 vcc_lo, 31, v17
	v_fma_f16 v5, v21, v14, -v5
	v_lshrrev_b32_e32 v14, 16, v1
	v_lshl_or_b32 v15, v15, 9, 0x7c00
	v_cndmask_b32_e32 v10, 0x7c00, v10, vcc_lo
	v_cmp_ne_u32_e32 vcc_lo, v6, v13
	v_add_nc_u32_e32 v13, 0xfffffc10, v22
	v_cvt_f32_f16_e32 v22, v23
	v_cndmask_b32_e64 v6, 0, 1, vcc_lo
	v_cmp_eq_u32_e32 vcc_lo, 0x40f, v17
	v_lshl_or_b32 v17, v13, 12, v0
	v_or_b32_e32 v11, v11, v6
	v_cndmask_b32_e32 v10, v10, v15, vcc_lo
	v_lshrrev_b32_e32 v15, 16, v7
	v_cvt_f64_f32_e32 v[6:7], v22
	v_and_or_b32 v2, 0x1ff, v3, v2
	v_cmp_gt_i32_e32 vcc_lo, 1, v13
	v_and_or_b32 v10, 0x8000, v15, v10
	v_lshrrev_b32_e32 v15, 8, v3
	v_cndmask_b32_e32 v11, v17, v11, vcc_lo
	v_cmp_ne_u32_e32 vcc_lo, 0, v2
	v_bfe_u32 v17, v3, 20, 11
	v_cndmask_b32_e64 v2, 0, 1, vcc_lo
	v_add_co_u32 v8, vcc_lo, v12, v8
	v_and_b32_e32 v12, 7, v11
	v_add_co_ci_u32_e32 v9, vcc_lo, v18, v9, vcc_lo
	v_and_or_b32 v2, 0xffe, v15, v2
	v_lshl_or_b32 v15, v10, 16, v4
	v_sub_nc_u32_e32 v4, 0x3f1, v17
	v_cmp_lt_i32_e32 vcc_lo, 5, v12
	v_cmp_eq_u32_e64 s0, 3, v12
	v_mul_f64 v[6:7], v[6:7], s[6:7]
	v_lshrrev_b32_e32 v11, 2, v11
	v_or_b32_e32 v10, 0x1000, v2
	v_med3_i32 v4, v4, 0, 13
	s_or_b32 vcc_lo, s0, vcc_lo
	ds_read_b32 v18, v19 offset:3600
	v_add_co_ci_u32_e32 v11, vcc_lo, 0, v11, vcc_lo
	v_lshrrev_b32_e32 v12, v4, v10
	v_cmp_ne_u32_e32 vcc_lo, 0, v0
	v_add_nc_u32_e32 v17, 0xfffffc10, v17
	v_lshlrev_b32_e32 v4, v4, v12
	v_cndmask_b32_e64 v0, 0, 1, vcc_lo
	v_cmp_gt_i32_e32 vcc_lo, 31, v13
	v_lshl_or_b32 v0, v0, 9, 0x7c00
	v_cndmask_b32_e32 v11, 0x7c00, v11, vcc_lo
	v_cmp_ne_u32_e32 vcc_lo, v4, v10
	v_and_or_b32 v6, 0x1ff, v7, v6
	v_cndmask_b32_e64 v4, 0, 1, vcc_lo
	v_cmp_eq_u32_e32 vcc_lo, 0x40f, v13
	v_bfe_u32 v13, v7, 20, 11
	v_cndmask_b32_e32 v10, v11, v0, vcc_lo
	v_cmp_ne_u32_e32 vcc_lo, 0, v6
	v_or_b32_e32 v0, v12, v4
	v_cvt_f32_f16_e32 v4, v5
	v_lshl_or_b32 v11, v17, 12, v2
	v_lshrrev_b32_e32 v12, 8, v7
	v_cndmask_b32_e64 v6, 0, 1, vcc_lo
	v_cmp_gt_i32_e32 vcc_lo, 1, v17
	v_cvt_f64_f32_e32 v[4:5], v4
	v_and_or_b32 v14, 0x8000, v14, v10
	v_lshrrev_b32_e32 v7, 16, v7
	v_and_or_b32 v6, 0xffe, v12, v6
	v_cndmask_b32_e32 v11, v11, v0, vcc_lo
	v_sub_nc_u32_e32 v0, 0x3f1, v13
	s_waitcnt lgkmcnt(0)
	v_lshrrev_b32_e32 v12, 16, v18
	v_add_nc_u32_e32 v13, 0xfffffc10, v13
	v_or_b32_e32 v21, 0x1000, v6
	v_and_b32_e32 v19, 7, v11
	v_med3_i32 v22, v0, 0, 13
	v_mul_f16_sdwa v23, v20, v12 dst_sel:DWORD dst_unused:UNUSED_PAD src0_sel:WORD_1 src1_sel:DWORD
	v_add_co_u32 v0, vcc_lo, v8, s3
	v_add_co_ci_u32_e32 v1, vcc_lo, s2, v9, vcc_lo
	v_lshrrev_b32_e32 v24, v22, v21
	v_fmac_f16_e32 v23, v20, v18
	v_cmp_lt_i32_e32 vcc_lo, 5, v19
	v_cmp_eq_u32_e64 s0, 3, v19
	v_lshrrev_b32_e32 v10, 2, v11
	v_lshlrev_b32_e32 v19, v22, v24
	v_cvt_f32_f16_e32 v11, v23
	v_mul_f64 v[4:5], v[4:5], s[6:7]
	s_or_b32 vcc_lo, s0, vcc_lo
	v_mul_f16_sdwa v18, v20, v18 dst_sel:DWORD dst_unused:UNUSED_PAD src0_sel:WORD_1 src1_sel:DWORD
	v_add_co_ci_u32_e32 v22, vcc_lo, 0, v10, vcc_lo
	v_cmp_ne_u32_e32 vcc_lo, v19, v21
	v_cvt_f64_f32_e32 v[10:11], v11
	v_lshl_or_b32 v21, v13, 12, v6
	v_fma_f16 v12, v20, v12, -v18
	v_and_b32_e32 v14, 0xffff, v14
	v_cndmask_b32_e64 v19, 0, 1, vcc_lo
	v_cmp_ne_u32_e32 vcc_lo, 0, v2
	v_cvt_f32_f16_e32 v12, v12
	v_or_b32_e32 v19, v24, v19
	v_cndmask_b32_e64 v2, 0, 1, vcc_lo
	v_cmp_gt_i32_e32 vcc_lo, 31, v17
	v_lshl_or_b32 v2, v2, 9, 0x7c00
	v_cndmask_b32_e32 v18, 0x7c00, v22, vcc_lo
	v_cmp_gt_i32_e32 vcc_lo, 1, v13
	v_and_or_b32 v4, 0x1ff, v5, v4
	v_lshrrev_b32_e32 v20, 8, v5
	v_cndmask_b32_e32 v19, v21, v19, vcc_lo
	v_cmp_eq_u32_e32 vcc_lo, 0x40f, v17
	v_mul_f64 v[10:11], v[10:11], s[6:7]
	v_bfe_u32 v21, v5, 20, 11
	v_lshrrev_b32_e32 v5, 16, v5
	v_cndmask_b32_e32 v17, v18, v2, vcc_lo
	v_lshrrev_b32_e32 v18, 16, v3
	v_cvt_f64_f32_e32 v[2:3], v12
	v_cmp_ne_u32_e32 vcc_lo, 0, v4
	v_and_b32_e32 v12, 7, v19
	v_and_or_b32 v17, 0x8000, v18, v17
	v_sub_nc_u32_e32 v18, 0x3f1, v21
	v_cndmask_b32_e64 v4, 0, 1, vcc_lo
	v_cmp_lt_i32_e32 vcc_lo, 5, v12
	v_cmp_eq_u32_e64 s0, 3, v12
	v_lshl_or_b32 v12, v17, 16, v14
	v_lshrrev_b32_e32 v14, 2, v19
	v_and_or_b32 v4, 0xffe, v20, v4
	v_med3_i32 v18, v18, 0, 13
	s_or_b32 vcc_lo, s0, vcc_lo
	v_add_co_ci_u32_e32 v14, vcc_lo, 0, v14, vcc_lo
	v_or_b32_e32 v17, 0x1000, v4
	v_cmp_ne_u32_e32 vcc_lo, 0, v6
	v_and_or_b32 v10, 0x1ff, v11, v10
	v_lshrrev_b32_e32 v20, 8, v11
	v_bfe_u32 v22, v11, 20, 11
	v_lshrrev_b32_e32 v19, v18, v17
	v_cndmask_b32_e64 v6, 0, 1, vcc_lo
	v_cmp_gt_i32_e32 vcc_lo, 31, v13
	v_mul_f64 v[2:3], v[2:3], s[6:7]
	v_lshrrev_b32_e32 v11, 16, v11
	v_lshlrev_b32_e32 v18, v18, v19
	v_lshl_or_b32 v6, v6, 9, 0x7c00
	v_cndmask_b32_e32 v14, 0x7c00, v14, vcc_lo
	v_cmp_ne_u32_e32 vcc_lo, 0, v10
	v_cndmask_b32_e64 v10, 0, 1, vcc_lo
	v_cmp_ne_u32_e32 vcc_lo, v18, v17
	v_add_nc_u32_e32 v18, 0xfffffc10, v21
	v_and_or_b32 v10, 0xffe, v20, v10
	v_cndmask_b32_e64 v17, 0, 1, vcc_lo
	v_sub_nc_u32_e32 v20, 0x3f1, v22
	v_cmp_eq_u32_e32 vcc_lo, 0x40f, v13
	v_or_b32_e32 v13, v19, v17
	v_or_b32_e32 v17, 0x1000, v10
	v_cndmask_b32_e32 v6, v14, v6, vcc_lo
	v_lshl_or_b32 v14, v18, 12, v4
	v_med3_i32 v19, v20, 0, 13
	v_cmp_gt_i32_e32 vcc_lo, 1, v18
	v_and_or_b32 v2, 0x1ff, v3, v2
	v_lshrrev_b32_e32 v20, 8, v3
	v_bfe_u32 v21, v3, 20, 11
	v_and_or_b32 v6, 0x8000, v7, v6
	v_cndmask_b32_e32 v13, v14, v13, vcc_lo
	v_lshrrev_b32_e32 v14, v19, v17
	v_cmp_ne_u32_e32 vcc_lo, 0, v2
	v_sub_nc_u32_e32 v7, 0x3f1, v21
	v_and_b32_e32 v23, 7, v13
	v_lshlrev_b32_e32 v19, v19, v14
	v_cndmask_b32_e64 v2, 0, 1, vcc_lo
	v_lshrrev_b32_e32 v13, 2, v13
	v_med3_i32 v7, v7, 0, 13
	v_cmp_lt_i32_e32 vcc_lo, 5, v23
	v_cmp_ne_u32_e64 s0, v19, v17
	v_and_or_b32 v2, 0xffe, v20, v2
	v_add_nc_u32_e32 v20, 0xfffffc10, v22
	v_cndmask_b32_e64 v17, 0, 1, s0
	v_cmp_eq_u32_e64 s0, 3, v23
	v_or_b32_e32 v19, 0x1000, v2
	v_lshl_or_b32 v22, v20, 12, v10
	v_or_b32_e32 v14, v14, v17
	s_or_b32 vcc_lo, s0, vcc_lo
	v_lshrrev_b32_e32 v17, v7, v19
	v_add_co_ci_u32_e32 v13, vcc_lo, 0, v13, vcc_lo
	v_cmp_gt_i32_e32 vcc_lo, 1, v20
	v_lshlrev_b32_e32 v7, v7, v17
	v_cndmask_b32_e32 v14, v22, v14, vcc_lo
	v_cmp_ne_u32_e32 vcc_lo, 0, v4
	v_cndmask_b32_e64 v4, 0, 1, vcc_lo
	v_cmp_ne_u32_e32 vcc_lo, v7, v19
	v_add_nc_u32_e32 v19, 0xfffffc10, v21
	v_and_b32_e32 v21, 7, v14
	v_lshl_or_b32 v4, v4, 9, 0x7c00
	v_cndmask_b32_e64 v7, 0, 1, vcc_lo
	v_cmp_gt_i32_e32 vcc_lo, 31, v18
	v_cmp_gt_i32_e64 s1, 1, v19
	v_cmp_eq_u32_e64 s0, 3, v21
	v_or_b32_e32 v7, v17, v7
	v_lshl_or_b32 v17, v19, 12, v2
	v_cndmask_b32_e32 v13, 0x7c00, v13, vcc_lo
	v_cmp_lt_i32_e32 vcc_lo, 5, v21
	v_cndmask_b32_e64 v7, v17, v7, s1
	v_cmp_eq_u32_e64 s1, 0x40f, v18
	s_or_b32 vcc_lo, s0, vcc_lo
	v_cndmask_b32_e64 v4, v13, v4, s1
	v_lshrrev_b32_e32 v13, 2, v14
	v_and_b32_e32 v14, 7, v7
	v_lshrrev_b32_e32 v7, 2, v7
	v_cmp_gt_i32_e64 s1, 31, v20
	v_and_or_b32 v4, 0x8000, v5, v4
	v_add_co_ci_u32_e32 v13, vcc_lo, 0, v13, vcc_lo
	v_cmp_ne_u32_e32 vcc_lo, 0, v10
	v_cmp_eq_u32_e64 s0, 3, v14
	v_and_b32_e32 v5, 0xffff, v6
	v_cndmask_b32_e64 v13, 0x7c00, v13, s1
	v_cndmask_b32_e64 v10, 0, 1, vcc_lo
	v_cmp_lt_i32_e32 vcc_lo, 5, v14
	v_lshl_or_b32 v10, v10, 9, 0x7c00
	s_or_b32 vcc_lo, s0, vcc_lo
	v_add_co_ci_u32_e32 v7, vcc_lo, 0, v7, vcc_lo
	v_cmp_ne_u32_e32 vcc_lo, 0, v2
	v_cndmask_b32_e64 v2, 0, 1, vcc_lo
	v_cmp_eq_u32_e32 vcc_lo, 0x40f, v20
	v_lshl_or_b32 v2, v2, 9, 0x7c00
	v_cndmask_b32_e32 v10, v13, v10, vcc_lo
	v_cmp_gt_i32_e32 vcc_lo, 31, v19
	v_and_or_b32 v6, 0x8000, v11, v10
	v_cndmask_b32_e32 v7, 0x7c00, v7, vcc_lo
	v_cmp_eq_u32_e32 vcc_lo, 0x40f, v19
	v_lshrrev_b32_e32 v10, 16, v3
	v_lshl_or_b32 v11, v4, 16, v5
	v_and_b32_e32 v6, 0xffff, v6
	v_cndmask_b32_e32 v7, v7, v2, vcc_lo
	v_add_co_u32 v2, vcc_lo, v0, s3
	v_add_co_ci_u32_e32 v3, vcc_lo, s2, v1, vcc_lo
	v_and_or_b32 v7, 0x8000, v10, v7
	v_add_co_u32 v4, vcc_lo, v2, s3
	v_add_co_ci_u32_e32 v5, vcc_lo, s2, v3, vcc_lo
	v_lshl_or_b32 v10, v7, 16, v6
	v_add_co_u32 v6, vcc_lo, v4, s3
	v_add_co_ci_u32_e32 v7, vcc_lo, s2, v5, vcc_lo
	global_store_dword v[8:9], v16, off
	global_store_dword v[0:1], v15, off
	;; [unrolled: 1-line block ×5, first 2 shown]
.LBB0_18:
	s_endpgm
	.section	.rodata,"a",@progbits
	.p2align	6, 0x0
	.amdhsa_kernel bluestein_single_fwd_len1125_dim1_half_op_CI_CI
		.amdhsa_group_segment_fixed_size 4500
		.amdhsa_private_segment_fixed_size 0
		.amdhsa_kernarg_size 104
		.amdhsa_user_sgpr_count 6
		.amdhsa_user_sgpr_private_segment_buffer 1
		.amdhsa_user_sgpr_dispatch_ptr 0
		.amdhsa_user_sgpr_queue_ptr 0
		.amdhsa_user_sgpr_kernarg_segment_ptr 1
		.amdhsa_user_sgpr_dispatch_id 0
		.amdhsa_user_sgpr_flat_scratch_init 0
		.amdhsa_user_sgpr_private_segment_size 0
		.amdhsa_wavefront_size32 1
		.amdhsa_uses_dynamic_stack 0
		.amdhsa_system_sgpr_private_segment_wavefront_offset 0
		.amdhsa_system_sgpr_workgroup_id_x 1
		.amdhsa_system_sgpr_workgroup_id_y 0
		.amdhsa_system_sgpr_workgroup_id_z 0
		.amdhsa_system_sgpr_workgroup_info 0
		.amdhsa_system_vgpr_workitem_id 0
		.amdhsa_next_free_vgpr 64
		.amdhsa_next_free_sgpr 20
		.amdhsa_reserve_vcc 1
		.amdhsa_reserve_flat_scratch 0
		.amdhsa_float_round_mode_32 0
		.amdhsa_float_round_mode_16_64 0
		.amdhsa_float_denorm_mode_32 3
		.amdhsa_float_denorm_mode_16_64 3
		.amdhsa_dx10_clamp 1
		.amdhsa_ieee_mode 1
		.amdhsa_fp16_overflow 0
		.amdhsa_workgroup_processor_mode 1
		.amdhsa_memory_ordered 1
		.amdhsa_forward_progress 0
		.amdhsa_shared_vgpr_count 0
		.amdhsa_exception_fp_ieee_invalid_op 0
		.amdhsa_exception_fp_denorm_src 0
		.amdhsa_exception_fp_ieee_div_zero 0
		.amdhsa_exception_fp_ieee_overflow 0
		.amdhsa_exception_fp_ieee_underflow 0
		.amdhsa_exception_fp_ieee_inexact 0
		.amdhsa_exception_int_div_zero 0
	.end_amdhsa_kernel
	.text
.Lfunc_end0:
	.size	bluestein_single_fwd_len1125_dim1_half_op_CI_CI, .Lfunc_end0-bluestein_single_fwd_len1125_dim1_half_op_CI_CI
                                        ; -- End function
	.section	.AMDGPU.csdata,"",@progbits
; Kernel info:
; codeLenInByte = 9644
; NumSgprs: 22
; NumVgprs: 64
; ScratchSize: 0
; MemoryBound: 0
; FloatMode: 240
; IeeeMode: 1
; LDSByteSize: 4500 bytes/workgroup (compile time only)
; SGPRBlocks: 2
; VGPRBlocks: 7
; NumSGPRsForWavesPerEU: 22
; NumVGPRsForWavesPerEU: 64
; Occupancy: 16
; WaveLimiterHint : 1
; COMPUTE_PGM_RSRC2:SCRATCH_EN: 0
; COMPUTE_PGM_RSRC2:USER_SGPR: 6
; COMPUTE_PGM_RSRC2:TRAP_HANDLER: 0
; COMPUTE_PGM_RSRC2:TGID_X_EN: 1
; COMPUTE_PGM_RSRC2:TGID_Y_EN: 0
; COMPUTE_PGM_RSRC2:TGID_Z_EN: 0
; COMPUTE_PGM_RSRC2:TIDIG_COMP_CNT: 0
	.text
	.p2alignl 6, 3214868480
	.fill 48, 4, 3214868480
	.type	__hip_cuid_3b60a6a63bb33257,@object ; @__hip_cuid_3b60a6a63bb33257
	.section	.bss,"aw",@nobits
	.globl	__hip_cuid_3b60a6a63bb33257
__hip_cuid_3b60a6a63bb33257:
	.byte	0                               ; 0x0
	.size	__hip_cuid_3b60a6a63bb33257, 1

	.ident	"AMD clang version 19.0.0git (https://github.com/RadeonOpenCompute/llvm-project roc-6.4.0 25133 c7fe45cf4b819c5991fe208aaa96edf142730f1d)"
	.section	".note.GNU-stack","",@progbits
	.addrsig
	.addrsig_sym __hip_cuid_3b60a6a63bb33257
	.amdgpu_metadata
---
amdhsa.kernels:
  - .args:
      - .actual_access:  read_only
        .address_space:  global
        .offset:         0
        .size:           8
        .value_kind:     global_buffer
      - .actual_access:  read_only
        .address_space:  global
        .offset:         8
        .size:           8
        .value_kind:     global_buffer
      - .actual_access:  read_only
        .address_space:  global
        .offset:         16
        .size:           8
        .value_kind:     global_buffer
      - .actual_access:  read_only
        .address_space:  global
        .offset:         24
        .size:           8
        .value_kind:     global_buffer
      - .actual_access:  read_only
        .address_space:  global
        .offset:         32
        .size:           8
        .value_kind:     global_buffer
      - .offset:         40
        .size:           8
        .value_kind:     by_value
      - .address_space:  global
        .offset:         48
        .size:           8
        .value_kind:     global_buffer
      - .address_space:  global
        .offset:         56
        .size:           8
        .value_kind:     global_buffer
      - .address_space:  global
        .offset:         64
        .size:           8
        .value_kind:     global_buffer
      - .address_space:  global
        .offset:         72
        .size:           8
        .value_kind:     global_buffer
      - .offset:         80
        .size:           4
        .value_kind:     by_value
      - .address_space:  global
        .offset:         88
        .size:           8
        .value_kind:     global_buffer
      - .address_space:  global
        .offset:         96
        .size:           8
        .value_kind:     global_buffer
    .group_segment_fixed_size: 4500
    .kernarg_segment_align: 8
    .kernarg_segment_size: 104
    .language:       OpenCL C
    .language_version:
      - 2
      - 0
    .max_flat_workgroup_size: 225
    .name:           bluestein_single_fwd_len1125_dim1_half_op_CI_CI
    .private_segment_fixed_size: 0
    .sgpr_count:     22
    .sgpr_spill_count: 0
    .symbol:         bluestein_single_fwd_len1125_dim1_half_op_CI_CI.kd
    .uniform_work_group_size: 1
    .uses_dynamic_stack: false
    .vgpr_count:     64
    .vgpr_spill_count: 0
    .wavefront_size: 32
    .workgroup_processor_mode: 1
amdhsa.target:   amdgcn-amd-amdhsa--gfx1030
amdhsa.version:
  - 1
  - 2
...

	.end_amdgpu_metadata
